;; amdgpu-corpus repo=tuanlda78202/gpt-oss-amd kind=compiled arch=gfx906 opt=O3
	.amdgcn_target "amdgcn-amd-amdhsa--gfx906"
	.amdhsa_code_object_version 6
	.text
	.protected	_Z13argmax_kernelPfiPi  ; -- Begin function _Z13argmax_kernelPfiPi
	.globl	_Z13argmax_kernelPfiPi
	.p2align	8
	.type	_Z13argmax_kernelPfiPi,@function
_Z13argmax_kernelPfiPi:                 ; @_Z13argmax_kernelPfiPi
; %bb.0:
	s_load_dword s0, s[4:5], 0x24
	s_load_dword s9, s[4:5], 0x8
	v_mov_b32_e32 v5, 0xff800000
	v_mov_b32_e32 v4, 0
	v_lshlrev_b32_e32 v3, 2, v0
	s_waitcnt lgkmcnt(0)
	s_and_b32 s8, s0, 0xffff
	v_cmp_gt_i32_e32 vcc, s9, v0
	s_and_saveexec_b64 s[2:3], vcc
	s_cbranch_execz .LBB0_4
; %bb.1:
	s_load_dwordx2 s[0:1], s[4:5], 0x0
	v_mov_b32_e32 v4, 0
	s_lshl_b32 s10, s8, 2
	v_mov_b32_e32 v5, 0xff800000
	s_mov_b64 s[6:7], 0
	s_waitcnt lgkmcnt(0)
	v_mov_b32_e32 v2, s1
	v_add_co_u32_e32 v1, vcc, s0, v3
	v_addc_co_u32_e32 v2, vcc, 0, v2, vcc
	v_mov_b32_e32 v6, v0
.LBB0_2:                                ; =>This Inner Loop Header: Depth=1
	global_load_dword v7, v[1:2], off
	v_add_co_u32_e32 v1, vcc, s10, v1
	v_addc_co_u32_e32 v2, vcc, 0, v2, vcc
	s_waitcnt vmcnt(0)
	v_cmp_gt_f32_e64 s[0:1], v7, v5
	v_cndmask_b32_e64 v4, v4, v6, s[0:1]
	v_add_u32_e32 v6, s8, v6
	v_cndmask_b32_e64 v5, v5, v7, s[0:1]
	v_cmp_le_i32_e64 s[0:1], s9, v6
	s_or_b64 s[6:7], s[0:1], s[6:7]
	s_andn2_b64 exec, exec, s[6:7]
	s_cbranch_execnz .LBB0_2
; %bb.3:
	s_or_b64 exec, exec, s[6:7]
.LBB0_4:
	s_or_b64 exec, exec, s[2:3]
	s_cmp_lt_u32 s8, 2
	ds_write2st64_b32 v3, v5, v4 offset1:16
	s_waitcnt lgkmcnt(0)
	s_barrier
	s_cbranch_scc1 .LBB0_10
; %bb.5:
	v_or_b32_e32 v1, 0x1000, v3
	s_branch .LBB0_7
.LBB0_6:                                ;   in Loop: Header=BB0_7 Depth=1
	s_or_b64 exec, exec, s[0:1]
	s_cmp_lt_u32 s2, 4
	s_waitcnt lgkmcnt(0)
	s_barrier
	s_cbranch_scc1 .LBB0_10
.LBB0_7:                                ; =>This Inner Loop Header: Depth=1
	s_mov_b32 s2, s8
	s_lshr_b32 s8, s8, 1
	v_cmp_gt_u32_e32 vcc, s8, v0
	s_and_saveexec_b64 s[0:1], vcc
	s_cbranch_execz .LBB0_6
; %bb.8:                                ;   in Loop: Header=BB0_7 Depth=1
	v_lshl_add_u32 v2, s8, 2, v3
	ds_read_b32 v4, v3
	ds_read_b32 v2, v2
	s_waitcnt lgkmcnt(0)
	v_cmp_lt_f32_e32 vcc, v4, v2
	s_and_b64 exec, exec, vcc
	s_cbranch_execz .LBB0_6
; %bb.9:                                ;   in Loop: Header=BB0_7 Depth=1
	v_lshl_add_u32 v4, s8, 2, v1
	ds_read_b32 v4, v4
	ds_write_b32 v3, v2
	s_waitcnt lgkmcnt(1)
	ds_write_b32 v1, v4
	s_branch .LBB0_6
.LBB0_10:
	v_cmp_eq_u32_e32 vcc, 0, v0
	s_and_saveexec_b64 s[0:1], vcc
	s_cbranch_execz .LBB0_12
; %bb.11:
	v_mov_b32_e32 v0, 0
	s_load_dwordx2 s[0:1], s[4:5], 0x10
	ds_read_b32 v1, v0 offset:4096
	s_waitcnt lgkmcnt(0)
	global_store_dword v0, v1, s[0:1]
.LBB0_12:
	s_endpgm
	.section	.rodata,"a",@progbits
	.p2align	6, 0x0
	.amdhsa_kernel _Z13argmax_kernelPfiPi
		.amdhsa_group_segment_fixed_size 8192
		.amdhsa_private_segment_fixed_size 0
		.amdhsa_kernarg_size 280
		.amdhsa_user_sgpr_count 6
		.amdhsa_user_sgpr_private_segment_buffer 1
		.amdhsa_user_sgpr_dispatch_ptr 0
		.amdhsa_user_sgpr_queue_ptr 0
		.amdhsa_user_sgpr_kernarg_segment_ptr 1
		.amdhsa_user_sgpr_dispatch_id 0
		.amdhsa_user_sgpr_flat_scratch_init 0
		.amdhsa_user_sgpr_private_segment_size 0
		.amdhsa_uses_dynamic_stack 0
		.amdhsa_system_sgpr_private_segment_wavefront_offset 0
		.amdhsa_system_sgpr_workgroup_id_x 1
		.amdhsa_system_sgpr_workgroup_id_y 0
		.amdhsa_system_sgpr_workgroup_id_z 0
		.amdhsa_system_sgpr_workgroup_info 0
		.amdhsa_system_vgpr_workitem_id 0
		.amdhsa_next_free_vgpr 29
		.amdhsa_next_free_sgpr 61
		.amdhsa_reserve_vcc 1
		.amdhsa_reserve_flat_scratch 0
		.amdhsa_float_round_mode_32 0
		.amdhsa_float_round_mode_16_64 0
		.amdhsa_float_denorm_mode_32 3
		.amdhsa_float_denorm_mode_16_64 3
		.amdhsa_dx10_clamp 1
		.amdhsa_ieee_mode 1
		.amdhsa_fp16_overflow 0
		.amdhsa_exception_fp_ieee_invalid_op 0
		.amdhsa_exception_fp_denorm_src 0
		.amdhsa_exception_fp_ieee_div_zero 0
		.amdhsa_exception_fp_ieee_overflow 0
		.amdhsa_exception_fp_ieee_underflow 0
		.amdhsa_exception_fp_ieee_inexact 0
		.amdhsa_exception_int_div_zero 0
	.end_amdhsa_kernel
	.text
.Lfunc_end0:
	.size	_Z13argmax_kernelPfiPi, .Lfunc_end0-_Z13argmax_kernelPfiPi
                                        ; -- End function
	.set _Z13argmax_kernelPfiPi.num_vgpr, 8
	.set _Z13argmax_kernelPfiPi.num_agpr, 0
	.set _Z13argmax_kernelPfiPi.numbered_sgpr, 11
	.set _Z13argmax_kernelPfiPi.num_named_barrier, 0
	.set _Z13argmax_kernelPfiPi.private_seg_size, 0
	.set _Z13argmax_kernelPfiPi.uses_vcc, 1
	.set _Z13argmax_kernelPfiPi.uses_flat_scratch, 0
	.set _Z13argmax_kernelPfiPi.has_dyn_sized_stack, 0
	.set _Z13argmax_kernelPfiPi.has_recursion, 0
	.set _Z13argmax_kernelPfiPi.has_indirect_call, 0
	.section	.AMDGPU.csdata,"",@progbits
; Kernel info:
; codeLenInByte = 384
; TotalNumSgprs: 15
; NumVgprs: 8
; ScratchSize: 0
; MemoryBound: 0
; FloatMode: 240
; IeeeMode: 1
; LDSByteSize: 8192 bytes/workgroup (compile time only)
; SGPRBlocks: 8
; VGPRBlocks: 7
; NumSGPRsForWavesPerEU: 65
; NumVGPRsForWavesPerEU: 29
; Occupancy: 8
; WaveLimiterHint : 0
; COMPUTE_PGM_RSRC2:SCRATCH_EN: 0
; COMPUTE_PGM_RSRC2:USER_SGPR: 6
; COMPUTE_PGM_RSRC2:TRAP_HANDLER: 0
; COMPUTE_PGM_RSRC2:TGID_X_EN: 1
; COMPUTE_PGM_RSRC2:TGID_Y_EN: 0
; COMPUTE_PGM_RSRC2:TGID_Z_EN: 0
; COMPUTE_PGM_RSRC2:TIDIG_COMP_CNT: 0
	.text
	.protected	_Z21argmax_batched_kernelPKfiiPKiPi ; -- Begin function _Z21argmax_batched_kernelPKfiiPKiPi
	.globl	_Z21argmax_batched_kernelPKfiiPKiPi
	.p2align	8
	.type	_Z21argmax_batched_kernelPKfiiPKiPi,@function
_Z21argmax_batched_kernelPKfiiPKiPi:    ; @_Z21argmax_batched_kernelPKfiiPKiPi
; %bb.0:
	s_load_dwordx2 s[0:1], s[4:5], 0x10
	s_waitcnt lgkmcnt(0)
	s_cmp_eq_u64 s[0:1], 0
	s_cbranch_scc1 .LBB1_2
; %bb.1:
	s_ashr_i32 s7, s6, 31
	s_lshl_b64 s[2:3], s[6:7], 2
	s_add_u32 s0, s0, s2
	s_addc_u32 s1, s1, s3
	s_load_dword s7, s[0:1], 0x0
	s_branch .LBB1_3
.LBB1_2:
	s_mov_b32 s7, s6
.LBB1_3:
	s_load_dwordx2 s[8:9], s[4:5], 0x8
	s_add_u32 s0, s4, 32
	s_addc_u32 s1, s5, 0
                                        ; implicit-def: $sgpr12
	s_waitcnt lgkmcnt(0)
	v_cmp_le_i32_e32 vcc, s8, v0
	s_and_saveexec_b64 s[2:3], vcc
	s_xor_b64 s[2:3], exec, s[2:3]
; %bb.4:
	s_load_dword s12, s[0:1], 0xc
; %bb.5:
	s_or_saveexec_b64 s[10:11], s[2:3]
	s_load_dwordx2 s[2:3], s[4:5], 0x18
	v_mov_b32_e32 v1, 0
	v_mov_b32_e32 v2, 0xff800000
	s_waitcnt lgkmcnt(0)
	v_mov_b32_e32 v4, s12
	s_xor_b64 exec, exec, s[10:11]
	s_cbranch_execz .LBB1_9
; %bb.6:
	s_load_dword s14, s[0:1], 0xc
	s_load_dwordx2 s[12:13], s[4:5], 0x0
	s_mul_i32 s7, s7, s9
	v_mov_b32_e32 v1, 0
	v_mov_b32_e32 v2, 0xff800000
	s_waitcnt lgkmcnt(0)
	s_and_b32 s9, s14, 0xffff
	s_mov_b64 s[4:5], 0
	v_mov_b32_e32 v3, s13
	v_mov_b32_e32 v4, v0
.LBB1_7:                                ; =>This Inner Loop Header: Depth=1
	v_add_u32_e32 v5, s7, v4
	v_ashrrev_i32_e32 v6, 31, v5
	v_lshlrev_b64 v[5:6], 2, v[5:6]
	v_add_co_u32_e32 v5, vcc, s12, v5
	v_addc_co_u32_e32 v6, vcc, v3, v6, vcc
	global_load_dword v5, v[5:6], off
	s_waitcnt vmcnt(0)
	v_cmp_gt_f32_e32 vcc, v5, v2
	v_cndmask_b32_e32 v1, v1, v4, vcc
	v_add_u32_e32 v4, s9, v4
	v_cmp_le_i32_e64 s[0:1], s8, v4
	s_or_b64 s[4:5], s[0:1], s[4:5]
	v_cndmask_b32_e32 v2, v2, v5, vcc
	s_andn2_b64 exec, exec, s[4:5]
	s_cbranch_execnz .LBB1_7
; %bb.8:
	s_or_b64 exec, exec, s[4:5]
	v_mov_b32_e32 v4, s14
.LBB1_9:
	s_or_b64 exec, exec, s[10:11]
	v_lshlrev_b32_e32 v3, 2, v0
	v_cmp_lt_u16_e32 vcc, 1, v4
	ds_write2st64_b32 v3, v1, v2 offset1:16
	s_waitcnt lgkmcnt(0)
	s_barrier
	s_and_saveexec_b64 s[0:1], vcc
	s_cbranch_execz .LBB1_15
; %bb.10:
	v_or_b32_e32 v1, 0x1000, v3
	v_lshrrev_b16_e32 v2, 1, v4
	s_mov_b64 s[4:5], 0
	s_branch .LBB1_12
.LBB1_11:                               ;   in Loop: Header=BB1_12 Depth=1
	s_or_b64 exec, exec, s[8:9]
	v_lshrrev_b32_e32 v4, 1, v2
	v_cmp_gt_u32_e32 vcc, 2, v2
	s_or_b64 s[4:5], vcc, s[4:5]
	v_mov_b32_e32 v2, v4
	s_waitcnt lgkmcnt(0)
	s_barrier
	s_andn2_b64 exec, exec, s[4:5]
	s_cbranch_execz .LBB1_15
.LBB1_12:                               ; =>This Inner Loop Header: Depth=1
	v_cmp_lt_u32_e32 vcc, v0, v2
	s_and_saveexec_b64 s[8:9], vcc
	s_cbranch_execz .LBB1_11
; %bb.13:                               ;   in Loop: Header=BB1_12 Depth=1
	v_lshl_add_u32 v4, v2, 2, v1
	ds_read_b32 v5, v1
	ds_read_b32 v4, v4
	s_waitcnt lgkmcnt(0)
	v_cmp_lt_f32_e32 vcc, v5, v4
	s_and_b64 exec, exec, vcc
	s_cbranch_execz .LBB1_11
; %bb.14:                               ;   in Loop: Header=BB1_12 Depth=1
	v_lshl_add_u32 v5, v2, 2, v3
	ds_read_b32 v5, v5
	ds_write_b32 v1, v4
	s_waitcnt lgkmcnt(1)
	ds_write_b32 v3, v5
	s_branch .LBB1_11
.LBB1_15:
	s_or_b64 exec, exec, s[0:1]
	v_cmp_eq_u32_e32 vcc, 0, v0
	s_and_saveexec_b64 s[0:1], vcc
	s_cbranch_execz .LBB1_17
; %bb.16:
	v_mov_b32_e32 v0, 0
	ds_read_b32 v1, v0
	s_ashr_i32 s7, s6, 31
	s_lshl_b64 s[0:1], s[6:7], 2
	s_add_u32 s0, s2, s0
	s_addc_u32 s1, s3, s1
	s_waitcnt lgkmcnt(0)
	global_store_dword v0, v1, s[0:1]
.LBB1_17:
	s_endpgm
	.section	.rodata,"a",@progbits
	.p2align	6, 0x0
	.amdhsa_kernel _Z21argmax_batched_kernelPKfiiPKiPi
		.amdhsa_group_segment_fixed_size 8192
		.amdhsa_private_segment_fixed_size 0
		.amdhsa_kernarg_size 288
		.amdhsa_user_sgpr_count 6
		.amdhsa_user_sgpr_private_segment_buffer 1
		.amdhsa_user_sgpr_dispatch_ptr 0
		.amdhsa_user_sgpr_queue_ptr 0
		.amdhsa_user_sgpr_kernarg_segment_ptr 1
		.amdhsa_user_sgpr_dispatch_id 0
		.amdhsa_user_sgpr_flat_scratch_init 0
		.amdhsa_user_sgpr_private_segment_size 0
		.amdhsa_uses_dynamic_stack 0
		.amdhsa_system_sgpr_private_segment_wavefront_offset 0
		.amdhsa_system_sgpr_workgroup_id_x 1
		.amdhsa_system_sgpr_workgroup_id_y 0
		.amdhsa_system_sgpr_workgroup_id_z 0
		.amdhsa_system_sgpr_workgroup_info 0
		.amdhsa_system_vgpr_workitem_id 0
		.amdhsa_next_free_vgpr 29
		.amdhsa_next_free_sgpr 61
		.amdhsa_reserve_vcc 1
		.amdhsa_reserve_flat_scratch 0
		.amdhsa_float_round_mode_32 0
		.amdhsa_float_round_mode_16_64 0
		.amdhsa_float_denorm_mode_32 3
		.amdhsa_float_denorm_mode_16_64 3
		.amdhsa_dx10_clamp 1
		.amdhsa_ieee_mode 1
		.amdhsa_fp16_overflow 0
		.amdhsa_exception_fp_ieee_invalid_op 0
		.amdhsa_exception_fp_denorm_src 0
		.amdhsa_exception_fp_ieee_div_zero 0
		.amdhsa_exception_fp_ieee_overflow 0
		.amdhsa_exception_fp_ieee_underflow 0
		.amdhsa_exception_fp_ieee_inexact 0
		.amdhsa_exception_int_div_zero 0
	.end_amdhsa_kernel
	.text
.Lfunc_end1:
	.size	_Z21argmax_batched_kernelPKfiiPKiPi, .Lfunc_end1-_Z21argmax_batched_kernelPKfiiPKiPi
                                        ; -- End function
	.set _Z21argmax_batched_kernelPKfiiPKiPi.num_vgpr, 7
	.set _Z21argmax_batched_kernelPKfiiPKiPi.num_agpr, 0
	.set _Z21argmax_batched_kernelPKfiiPKiPi.numbered_sgpr, 15
	.set _Z21argmax_batched_kernelPKfiiPKiPi.num_named_barrier, 0
	.set _Z21argmax_batched_kernelPKfiiPKiPi.private_seg_size, 0
	.set _Z21argmax_batched_kernelPKfiiPKiPi.uses_vcc, 1
	.set _Z21argmax_batched_kernelPKfiiPKiPi.uses_flat_scratch, 0
	.set _Z21argmax_batched_kernelPKfiiPKiPi.has_dyn_sized_stack, 0
	.set _Z21argmax_batched_kernelPKfiiPKiPi.has_recursion, 0
	.set _Z21argmax_batched_kernelPKfiiPKiPi.has_indirect_call, 0
	.section	.AMDGPU.csdata,"",@progbits
; Kernel info:
; codeLenInByte = 512
; TotalNumSgprs: 19
; NumVgprs: 7
; ScratchSize: 0
; MemoryBound: 0
; FloatMode: 240
; IeeeMode: 1
; LDSByteSize: 8192 bytes/workgroup (compile time only)
; SGPRBlocks: 8
; VGPRBlocks: 7
; NumSGPRsForWavesPerEU: 65
; NumVGPRsForWavesPerEU: 29
; Occupancy: 8
; WaveLimiterHint : 0
; COMPUTE_PGM_RSRC2:SCRATCH_EN: 0
; COMPUTE_PGM_RSRC2:USER_SGPR: 6
; COMPUTE_PGM_RSRC2:TRAP_HANDLER: 0
; COMPUTE_PGM_RSRC2:TGID_X_EN: 1
; COMPUTE_PGM_RSRC2:TGID_Y_EN: 0
; COMPUTE_PGM_RSRC2:TGID_Z_EN: 0
; COMPUTE_PGM_RSRC2:TIDIG_COMP_CNT: 0
	.text
	.protected	_Z25multinomial_sample_kernelPfiyPi ; -- Begin function _Z25multinomial_sample_kernelPfiyPi
	.globl	_Z25multinomial_sample_kernelPfiyPi
	.p2align	8
	.type	_Z25multinomial_sample_kernelPfiyPi,@function
_Z25multinomial_sample_kernelPfiyPi:    ; @_Z25multinomial_sample_kernelPfiyPi
; %bb.0:
	v_cmp_eq_u32_e32 vcc, 0, v0
	s_and_saveexec_b64 s[0:1], vcc
	s_cbranch_execz .LBB2_9
; %bb.1:
	s_load_dword s10, s[4:5], 0x8
	s_load_dwordx4 s[0:3], s[4:5], 0x10
	s_waitcnt lgkmcnt(0)
	s_cmp_lt_i32 s10, 1
	s_cbranch_scc1 .LBB2_10
; %bb.2:
	s_add_u32 s0, s0, s6
	s_addc_u32 s1, s1, 0
	s_lshr_b64 s[8:9], s[0:1], 12
	s_xor_b64 s[0:1], s[8:9], s[0:1]
	s_lshl_b64 s[8:9], s[0:1], 25
	s_xor_b64 s[0:1], s[8:9], s[0:1]
	s_lshr_b64 s[8:9], s[0:1], 27
	s_xor_b64 s[0:1], s[8:9], s[0:1]
	s_mul_i32 s6, s0, 0x2545f491
	s_mul_hi_u32 s0, s0, 0x4f6cdd1d
	s_add_i32 s0, s0, s6
	s_mul_i32 s1, s1, 0x4f6cdd1d
	s_add_i32 s0, s0, s1
	s_lshr_b32 s6, s0, 8
	s_flbit_i32_b32 s0, 0
	s_mov_b32 s7, 0
	s_min_u32 s8, s0, 32
	s_lshl_b64 s[0:1], s[6:7], s8
	s_min_u32 s0, s0, 1
	s_or_b32 s0, s1, s0
	v_cvt_f32_u32_e32 v0, s0
	s_load_dwordx2 s[0:1], s[4:5], 0x0
	s_sub_i32 s4, 32, s8
	v_mov_b32_e32 v1, 0
	v_ldexp_f32 v0, v0, s4
	v_mul_f32_e32 v0, 0x33800000, v0
	s_branch .LBB2_4
.LBB2_3:                                ;   in Loop: Header=BB2_4 Depth=1
	s_andn2_b64 vcc, exec, s[8:9]
	s_cbranch_vccz .LBB2_6
.LBB2_4:                                ; =>This Inner Loop Header: Depth=1
	s_waitcnt lgkmcnt(0)
	s_load_dword s8, s[0:1], 0x0
	s_mov_b32 s6, s7
	s_mov_b64 s[4:5], -1
                                        ; implicit-def: $sgpr7
	s_waitcnt lgkmcnt(0)
	v_add_f32_e32 v1, s8, v1
	v_cmp_lt_f32_e32 vcc, v0, v1
	s_mov_b64 s[8:9], -1
	s_cbranch_vccnz .LBB2_3
; %bb.5:                                ;   in Loop: Header=BB2_4 Depth=1
	s_add_i32 s7, s6, 1
	s_add_u32 s0, s0, 4
	s_addc_u32 s1, s1, 0
	s_cmp_eq_u32 s10, s7
	s_mov_b64 s[4:5], 0
	s_cselect_b64 s[8:9], -1, 0
	s_branch .LBB2_3
.LBB2_6:
	s_xor_b64 s[0:1], s[4:5], -1
	s_and_b64 vcc, exec, s[0:1]
	s_cbranch_vccz .LBB2_8
.LBB2_7:
	s_add_i32 s6, s10, -1
.LBB2_8:
	v_mov_b32_e32 v0, 0
	v_mov_b32_e32 v1, s6
	global_store_dword v0, v1, s[2:3]
.LBB2_9:
	s_endpgm
.LBB2_10:
                                        ; implicit-def: $sgpr6
	s_cbranch_execnz .LBB2_7
	s_branch .LBB2_8
	.section	.rodata,"a",@progbits
	.p2align	6, 0x0
	.amdhsa_kernel _Z25multinomial_sample_kernelPfiyPi
		.amdhsa_group_segment_fixed_size 0
		.amdhsa_private_segment_fixed_size 0
		.amdhsa_kernarg_size 32
		.amdhsa_user_sgpr_count 6
		.amdhsa_user_sgpr_private_segment_buffer 1
		.amdhsa_user_sgpr_dispatch_ptr 0
		.amdhsa_user_sgpr_queue_ptr 0
		.amdhsa_user_sgpr_kernarg_segment_ptr 1
		.amdhsa_user_sgpr_dispatch_id 0
		.amdhsa_user_sgpr_flat_scratch_init 0
		.amdhsa_user_sgpr_private_segment_size 0
		.amdhsa_uses_dynamic_stack 0
		.amdhsa_system_sgpr_private_segment_wavefront_offset 0
		.amdhsa_system_sgpr_workgroup_id_x 1
		.amdhsa_system_sgpr_workgroup_id_y 0
		.amdhsa_system_sgpr_workgroup_id_z 0
		.amdhsa_system_sgpr_workgroup_info 0
		.amdhsa_system_vgpr_workitem_id 0
		.amdhsa_next_free_vgpr 2
		.amdhsa_next_free_sgpr 11
		.amdhsa_reserve_vcc 1
		.amdhsa_reserve_flat_scratch 0
		.amdhsa_float_round_mode_32 0
		.amdhsa_float_round_mode_16_64 0
		.amdhsa_float_denorm_mode_32 3
		.amdhsa_float_denorm_mode_16_64 3
		.amdhsa_dx10_clamp 1
		.amdhsa_ieee_mode 1
		.amdhsa_fp16_overflow 0
		.amdhsa_exception_fp_ieee_invalid_op 0
		.amdhsa_exception_fp_denorm_src 0
		.amdhsa_exception_fp_ieee_div_zero 0
		.amdhsa_exception_fp_ieee_overflow 0
		.amdhsa_exception_fp_ieee_underflow 0
		.amdhsa_exception_fp_ieee_inexact 0
		.amdhsa_exception_int_div_zero 0
	.end_amdhsa_kernel
	.text
.Lfunc_end2:
	.size	_Z25multinomial_sample_kernelPfiyPi, .Lfunc_end2-_Z25multinomial_sample_kernelPfiyPi
                                        ; -- End function
	.set _Z25multinomial_sample_kernelPfiyPi.num_vgpr, 2
	.set _Z25multinomial_sample_kernelPfiyPi.num_agpr, 0
	.set _Z25multinomial_sample_kernelPfiyPi.numbered_sgpr, 11
	.set _Z25multinomial_sample_kernelPfiyPi.num_named_barrier, 0
	.set _Z25multinomial_sample_kernelPfiyPi.private_seg_size, 0
	.set _Z25multinomial_sample_kernelPfiyPi.uses_vcc, 1
	.set _Z25multinomial_sample_kernelPfiyPi.uses_flat_scratch, 0
	.set _Z25multinomial_sample_kernelPfiyPi.has_dyn_sized_stack, 0
	.set _Z25multinomial_sample_kernelPfiyPi.has_recursion, 0
	.set _Z25multinomial_sample_kernelPfiyPi.has_indirect_call, 0
	.section	.AMDGPU.csdata,"",@progbits
; Kernel info:
; codeLenInByte = 292
; TotalNumSgprs: 15
; NumVgprs: 2
; ScratchSize: 0
; MemoryBound: 0
; FloatMode: 240
; IeeeMode: 1
; LDSByteSize: 0 bytes/workgroup (compile time only)
; SGPRBlocks: 1
; VGPRBlocks: 0
; NumSGPRsForWavesPerEU: 15
; NumVGPRsForWavesPerEU: 2
; Occupancy: 10
; WaveLimiterHint : 0
; COMPUTE_PGM_RSRC2:SCRATCH_EN: 0
; COMPUTE_PGM_RSRC2:USER_SGPR: 6
; COMPUTE_PGM_RSRC2:TRAP_HANDLER: 0
; COMPUTE_PGM_RSRC2:TGID_X_EN: 1
; COMPUTE_PGM_RSRC2:TGID_Y_EN: 0
; COMPUTE_PGM_RSRC2:TGID_Z_EN: 0
; COMPUTE_PGM_RSRC2:TIDIG_COMP_CNT: 0
	.text
	.protected	_Z24temperature_scale_kernelPfif ; -- Begin function _Z24temperature_scale_kernelPfif
	.globl	_Z24temperature_scale_kernelPfif
	.p2align	8
	.type	_Z24temperature_scale_kernelPfif,@function
_Z24temperature_scale_kernelPfif:       ; @_Z24temperature_scale_kernelPfif
; %bb.0:
	s_load_dword s2, s[4:5], 0x1c
	s_load_dwordx2 s[0:1], s[4:5], 0x8
	s_waitcnt lgkmcnt(0)
	s_and_b32 s2, s2, 0xffff
	s_mul_i32 s6, s6, s2
	v_add_u32_e32 v0, s6, v0
	v_cmp_gt_i32_e32 vcc, s0, v0
	s_and_saveexec_b64 s[2:3], vcc
	s_cbranch_execz .LBB3_2
; %bb.1:
	s_load_dwordx2 s[2:3], s[4:5], 0x0
	v_ashrrev_i32_e32 v1, 31, v0
	v_lshlrev_b64 v[0:1], 2, v[0:1]
	s_waitcnt lgkmcnt(0)
	v_mov_b32_e32 v2, s3
	v_add_co_u32_e32 v0, vcc, s2, v0
	v_addc_co_u32_e32 v1, vcc, v2, v1, vcc
	global_load_dword v2, v[0:1], off
	s_waitcnt vmcnt(0)
	v_div_scale_f32 v3, s[2:3], s1, s1, v2
	v_div_scale_f32 v4, vcc, v2, s1, v2
	v_rcp_f32_e32 v5, v3
	v_fma_f32 v6, -v3, v5, 1.0
	v_fmac_f32_e32 v5, v6, v5
	v_mul_f32_e32 v6, v4, v5
	v_fma_f32 v7, -v3, v6, v4
	v_fmac_f32_e32 v6, v7, v5
	v_fma_f32 v3, -v3, v6, v4
	v_div_fmas_f32 v3, v3, v5, v6
	v_div_fixup_f32 v2, v3, s1, v2
	global_store_dword v[0:1], v2, off
.LBB3_2:
	s_endpgm
	.section	.rodata,"a",@progbits
	.p2align	6, 0x0
	.amdhsa_kernel _Z24temperature_scale_kernelPfif
		.amdhsa_group_segment_fixed_size 0
		.amdhsa_private_segment_fixed_size 0
		.amdhsa_kernarg_size 272
		.amdhsa_user_sgpr_count 6
		.amdhsa_user_sgpr_private_segment_buffer 1
		.amdhsa_user_sgpr_dispatch_ptr 0
		.amdhsa_user_sgpr_queue_ptr 0
		.amdhsa_user_sgpr_kernarg_segment_ptr 1
		.amdhsa_user_sgpr_dispatch_id 0
		.amdhsa_user_sgpr_flat_scratch_init 0
		.amdhsa_user_sgpr_private_segment_size 0
		.amdhsa_uses_dynamic_stack 0
		.amdhsa_system_sgpr_private_segment_wavefront_offset 0
		.amdhsa_system_sgpr_workgroup_id_x 1
		.amdhsa_system_sgpr_workgroup_id_y 0
		.amdhsa_system_sgpr_workgroup_id_z 0
		.amdhsa_system_sgpr_workgroup_info 0
		.amdhsa_system_vgpr_workitem_id 0
		.amdhsa_next_free_vgpr 8
		.amdhsa_next_free_sgpr 7
		.amdhsa_reserve_vcc 1
		.amdhsa_reserve_flat_scratch 0
		.amdhsa_float_round_mode_32 0
		.amdhsa_float_round_mode_16_64 0
		.amdhsa_float_denorm_mode_32 3
		.amdhsa_float_denorm_mode_16_64 3
		.amdhsa_dx10_clamp 1
		.amdhsa_ieee_mode 1
		.amdhsa_fp16_overflow 0
		.amdhsa_exception_fp_ieee_invalid_op 0
		.amdhsa_exception_fp_denorm_src 0
		.amdhsa_exception_fp_ieee_div_zero 0
		.amdhsa_exception_fp_ieee_overflow 0
		.amdhsa_exception_fp_ieee_underflow 0
		.amdhsa_exception_fp_ieee_inexact 0
		.amdhsa_exception_int_div_zero 0
	.end_amdhsa_kernel
	.text
.Lfunc_end3:
	.size	_Z24temperature_scale_kernelPfif, .Lfunc_end3-_Z24temperature_scale_kernelPfif
                                        ; -- End function
	.set _Z24temperature_scale_kernelPfif.num_vgpr, 8
	.set _Z24temperature_scale_kernelPfif.num_agpr, 0
	.set _Z24temperature_scale_kernelPfif.numbered_sgpr, 7
	.set _Z24temperature_scale_kernelPfif.num_named_barrier, 0
	.set _Z24temperature_scale_kernelPfif.private_seg_size, 0
	.set _Z24temperature_scale_kernelPfif.uses_vcc, 1
	.set _Z24temperature_scale_kernelPfif.uses_flat_scratch, 0
	.set _Z24temperature_scale_kernelPfif.has_dyn_sized_stack, 0
	.set _Z24temperature_scale_kernelPfif.has_recursion, 0
	.set _Z24temperature_scale_kernelPfif.has_indirect_call, 0
	.section	.AMDGPU.csdata,"",@progbits
; Kernel info:
; codeLenInByte = 180
; TotalNumSgprs: 11
; NumVgprs: 8
; ScratchSize: 0
; MemoryBound: 0
; FloatMode: 240
; IeeeMode: 1
; LDSByteSize: 0 bytes/workgroup (compile time only)
; SGPRBlocks: 1
; VGPRBlocks: 1
; NumSGPRsForWavesPerEU: 11
; NumVGPRsForWavesPerEU: 8
; Occupancy: 10
; WaveLimiterHint : 0
; COMPUTE_PGM_RSRC2:SCRATCH_EN: 0
; COMPUTE_PGM_RSRC2:USER_SGPR: 6
; COMPUTE_PGM_RSRC2:TRAP_HANDLER: 0
; COMPUTE_PGM_RSRC2:TGID_X_EN: 1
; COMPUTE_PGM_RSRC2:TGID_Y_EN: 0
; COMPUTE_PGM_RSRC2:TGID_Z_EN: 0
; COMPUTE_PGM_RSRC2:TIDIG_COMP_CNT: 0
	.section	.AMDGPU.gpr_maximums,"",@progbits
	.set amdgpu.max_num_vgpr, 0
	.set amdgpu.max_num_agpr, 0
	.set amdgpu.max_num_sgpr, 0
	.section	.AMDGPU.csdata,"",@progbits
	.type	__hip_cuid_494c3405520e3f19,@object ; @__hip_cuid_494c3405520e3f19
	.section	.bss,"aw",@nobits
	.globl	__hip_cuid_494c3405520e3f19
__hip_cuid_494c3405520e3f19:
	.byte	0                               ; 0x0
	.size	__hip_cuid_494c3405520e3f19, 1

	.ident	"AMD clang version 22.0.0git (https://github.com/RadeonOpenCompute/llvm-project roc-7.2.4 26084 f58b06dce1f9c15707c5f808fd002e18c2accf7e)"
	.section	".note.GNU-stack","",@progbits
	.addrsig
	.addrsig_sym __hip_cuid_494c3405520e3f19
	.amdgpu_metadata
---
amdhsa.kernels:
  - .args:
      - .address_space:  global
        .offset:         0
        .size:           8
        .value_kind:     global_buffer
      - .offset:         8
        .size:           4
        .value_kind:     by_value
      - .address_space:  global
        .offset:         16
        .size:           8
        .value_kind:     global_buffer
      - .offset:         24
        .size:           4
        .value_kind:     hidden_block_count_x
      - .offset:         28
        .size:           4
        .value_kind:     hidden_block_count_y
      - .offset:         32
        .size:           4
        .value_kind:     hidden_block_count_z
      - .offset:         36
        .size:           2
        .value_kind:     hidden_group_size_x
      - .offset:         38
        .size:           2
        .value_kind:     hidden_group_size_y
      - .offset:         40
        .size:           2
        .value_kind:     hidden_group_size_z
      - .offset:         42
        .size:           2
        .value_kind:     hidden_remainder_x
      - .offset:         44
        .size:           2
        .value_kind:     hidden_remainder_y
      - .offset:         46
        .size:           2
        .value_kind:     hidden_remainder_z
      - .offset:         64
        .size:           8
        .value_kind:     hidden_global_offset_x
      - .offset:         72
        .size:           8
        .value_kind:     hidden_global_offset_y
      - .offset:         80
        .size:           8
        .value_kind:     hidden_global_offset_z
      - .offset:         88
        .size:           2
        .value_kind:     hidden_grid_dims
    .group_segment_fixed_size: 8192
    .kernarg_segment_align: 8
    .kernarg_segment_size: 280
    .language:       OpenCL C
    .language_version:
      - 2
      - 0
    .max_flat_workgroup_size: 1024
    .name:           _Z13argmax_kernelPfiPi
    .private_segment_fixed_size: 0
    .sgpr_count:     15
    .sgpr_spill_count: 0
    .symbol:         _Z13argmax_kernelPfiPi.kd
    .uniform_work_group_size: 1
    .uses_dynamic_stack: false
    .vgpr_count:     8
    .vgpr_spill_count: 0
    .wavefront_size: 64
  - .args:
      - .actual_access:  read_only
        .address_space:  global
        .offset:         0
        .size:           8
        .value_kind:     global_buffer
      - .offset:         8
        .size:           4
        .value_kind:     by_value
      - .offset:         12
        .size:           4
        .value_kind:     by_value
      - .actual_access:  read_only
        .address_space:  global
        .offset:         16
        .size:           8
        .value_kind:     global_buffer
      - .actual_access:  write_only
        .address_space:  global
        .offset:         24
        .size:           8
        .value_kind:     global_buffer
      - .offset:         32
        .size:           4
        .value_kind:     hidden_block_count_x
      - .offset:         36
        .size:           4
        .value_kind:     hidden_block_count_y
      - .offset:         40
        .size:           4
        .value_kind:     hidden_block_count_z
      - .offset:         44
        .size:           2
        .value_kind:     hidden_group_size_x
      - .offset:         46
        .size:           2
        .value_kind:     hidden_group_size_y
      - .offset:         48
        .size:           2
        .value_kind:     hidden_group_size_z
      - .offset:         50
        .size:           2
        .value_kind:     hidden_remainder_x
      - .offset:         52
        .size:           2
        .value_kind:     hidden_remainder_y
      - .offset:         54
        .size:           2
        .value_kind:     hidden_remainder_z
      - .offset:         72
        .size:           8
        .value_kind:     hidden_global_offset_x
      - .offset:         80
        .size:           8
        .value_kind:     hidden_global_offset_y
      - .offset:         88
        .size:           8
        .value_kind:     hidden_global_offset_z
      - .offset:         96
        .size:           2
        .value_kind:     hidden_grid_dims
    .group_segment_fixed_size: 8192
    .kernarg_segment_align: 8
    .kernarg_segment_size: 288
    .language:       OpenCL C
    .language_version:
      - 2
      - 0
    .max_flat_workgroup_size: 1024
    .name:           _Z21argmax_batched_kernelPKfiiPKiPi
    .private_segment_fixed_size: 0
    .sgpr_count:     19
    .sgpr_spill_count: 0
    .symbol:         _Z21argmax_batched_kernelPKfiiPKiPi.kd
    .uniform_work_group_size: 1
    .uses_dynamic_stack: false
    .vgpr_count:     7
    .vgpr_spill_count: 0
    .wavefront_size: 64
  - .args:
      - .address_space:  global
        .offset:         0
        .size:           8
        .value_kind:     global_buffer
      - .offset:         8
        .size:           4
        .value_kind:     by_value
      - .offset:         16
        .size:           8
        .value_kind:     by_value
      - .address_space:  global
        .offset:         24
        .size:           8
        .value_kind:     global_buffer
    .group_segment_fixed_size: 0
    .kernarg_segment_align: 8
    .kernarg_segment_size: 32
    .language:       OpenCL C
    .language_version:
      - 2
      - 0
    .max_flat_workgroup_size: 1024
    .name:           _Z25multinomial_sample_kernelPfiyPi
    .private_segment_fixed_size: 0
    .sgpr_count:     15
    .sgpr_spill_count: 0
    .symbol:         _Z25multinomial_sample_kernelPfiyPi.kd
    .uniform_work_group_size: 1
    .uses_dynamic_stack: false
    .vgpr_count:     2
    .vgpr_spill_count: 0
    .wavefront_size: 64
  - .args:
      - .address_space:  global
        .offset:         0
        .size:           8
        .value_kind:     global_buffer
      - .offset:         8
        .size:           4
        .value_kind:     by_value
      - .offset:         12
        .size:           4
        .value_kind:     by_value
      - .offset:         16
        .size:           4
        .value_kind:     hidden_block_count_x
      - .offset:         20
        .size:           4
        .value_kind:     hidden_block_count_y
      - .offset:         24
        .size:           4
        .value_kind:     hidden_block_count_z
      - .offset:         28
        .size:           2
        .value_kind:     hidden_group_size_x
      - .offset:         30
        .size:           2
        .value_kind:     hidden_group_size_y
      - .offset:         32
        .size:           2
        .value_kind:     hidden_group_size_z
      - .offset:         34
        .size:           2
        .value_kind:     hidden_remainder_x
      - .offset:         36
        .size:           2
        .value_kind:     hidden_remainder_y
      - .offset:         38
        .size:           2
        .value_kind:     hidden_remainder_z
      - .offset:         56
        .size:           8
        .value_kind:     hidden_global_offset_x
      - .offset:         64
        .size:           8
        .value_kind:     hidden_global_offset_y
      - .offset:         72
        .size:           8
        .value_kind:     hidden_global_offset_z
      - .offset:         80
        .size:           2
        .value_kind:     hidden_grid_dims
    .group_segment_fixed_size: 0
    .kernarg_segment_align: 8
    .kernarg_segment_size: 272
    .language:       OpenCL C
    .language_version:
      - 2
      - 0
    .max_flat_workgroup_size: 1024
    .name:           _Z24temperature_scale_kernelPfif
    .private_segment_fixed_size: 0
    .sgpr_count:     11
    .sgpr_spill_count: 0
    .symbol:         _Z24temperature_scale_kernelPfif.kd
    .uniform_work_group_size: 1
    .uses_dynamic_stack: false
    .vgpr_count:     8
    .vgpr_spill_count: 0
    .wavefront_size: 64
amdhsa.target:   amdgcn-amd-amdhsa--gfx906
amdhsa.version:
  - 1
  - 2
...

	.end_amdgpu_metadata
